;; amdgpu-corpus repo=triton-lang/triton kind=triton arch=gfx1201 opt=O3 lang=triton
	.amdgcn_target "amdgcn-amd-amdhsa--gfx1201"
	.amdhsa_code_object_version 5
	.text
	.globl	asin_kernel                     ; -- Begin function asin_kernel
	.p2align	8
	.type	asin_kernel,@function
asin_kernel:                            ; @asin_kernel
.Lfunc_begin0:
	.cfi_sections .debug_frame
	.cfi_startproc
; %bb.0:
	.file	1 "/root/src/amdgpu-assembly/repos/triton-lang__triton-aot" "libdevice_asin.py"
	.loc	1 17 41 prologue_end            ; libdevice_asin.py:17:41
	s_bfe_u32 s2, ttmp8, 0x50019
	v_and_b32_e32 v0, 31, v0
	s_lshl_b32 s2, s2, 5
	s_clause 0x1
	s_load_b64 s[6:7], s[0:1], 0x0
	s_load_b32 s3, s[0:1], 0x10
	.loc	1 16 24                         ; libdevice_asin.py:16:24
	s_lshl_b32 s4, ttmp9, 9
	.loc	1 17 41                         ; libdevice_asin.py:17:41
	s_and_b32 s2, s2, 0x60
	v_mov_b32_e32 v4, 0
	v_mov_b32_e32 v5, 0
	.loc	1 17 28 is_stmt 0               ; libdevice_asin.py:17:28
	v_or3_b32 v10, s2, v0, s4
	v_mov_b32_e32 v0, 0
	v_mov_b32_e32 v1, 0
	s_delay_alu instid0(VALU_DEP_3) | instskip(NEXT) | instid1(VALU_DEP_1)
	.loc	1 19 24 is_stmt 1               ; libdevice_asin.py:19:24
	v_ashrrev_i32_e32 v11, 31, v10
	v_lshlrev_b64_e32 v[8:9], 3, v[10:11]
	.loc	1 18 21                         ; libdevice_asin.py:18:21
	s_wait_kmcnt 0x0
	v_cmp_gt_i32_e64 s4, s3, v10
	s_delay_alu instid0(VALU_DEP_2) | instskip(NEXT) | instid1(VALU_DEP_1)
	.loc	1 19 24                         ; libdevice_asin.py:19:24
	v_add_co_u32 v11, vcc_lo, s6, v8
	v_add_co_ci_u32_e64 v12, null, s7, v9, vcc_lo
	.loc	1 19 16 is_stmt 0               ; libdevice_asin.py:19:16
	s_and_saveexec_b32 s2, s4
	s_cbranch_execz .LBB0_2
; %bb.1:
	global_load_b64 v[4:5], v[11:12], off
.LBB0_2:
	.loc	1 0 16                          ; libdevice_asin.py:0:16
	s_wait_alu depctr_sa_sdst(0)
	s_or_b32 exec_lo, exec_lo, s2
	.loc	1 17 28 is_stmt 1               ; libdevice_asin.py:17:28
	v_or_b32_e32 v2, 0x80, v10
	s_delay_alu instid0(VALU_DEP_1)
	.loc	1 18 21                         ; libdevice_asin.py:18:21
	v_cmp_gt_i32_e32 vcc_lo, s3, v2
	.loc	1 19 16                         ; libdevice_asin.py:19:16
	s_and_saveexec_b32 s2, vcc_lo
	s_cbranch_execz .LBB0_4
; %bb.3:
	global_load_b64 v[0:1], v[11:12], off offset:1024
.LBB0_4:
	.loc	1 0 16 is_stmt 0                ; libdevice_asin.py:0:16
	s_wait_alu depctr_sa_sdst(0)
	s_or_b32 exec_lo, exec_lo, s2
	.loc	1 17 28 is_stmt 1               ; libdevice_asin.py:17:28
	v_or_b32_e32 v13, 0x100, v10
	v_mov_b32_e32 v2, 0
	v_dual_mov_b32 v3, 0 :: v_dual_mov_b32 v6, 0
	v_mov_b32_e32 v7, 0
	s_delay_alu instid0(VALU_DEP_4)
	.loc	1 18 21                         ; libdevice_asin.py:18:21
	v_cmp_gt_i32_e64 s2, s3, v13
	.loc	1 19 16                         ; libdevice_asin.py:19:16
	s_and_saveexec_b32 s5, s2
	s_cbranch_execz .LBB0_6
; %bb.5:
	global_load_b64 v[6:7], v[11:12], off offset:2048
.LBB0_6:
	.loc	1 0 16 is_stmt 0                ; libdevice_asin.py:0:16
	s_wait_alu depctr_sa_sdst(0)
	s_or_b32 exec_lo, exec_lo, s5
	.loc	1 17 28 is_stmt 1               ; libdevice_asin.py:17:28
	v_or_b32_e32 v10, 0x180, v10
	s_delay_alu instid0(VALU_DEP_1)
	.loc	1 18 21                         ; libdevice_asin.py:18:21
	v_cmp_gt_i32_e64 s3, s3, v10
	.loc	1 19 16                         ; libdevice_asin.py:19:16
	s_and_saveexec_b32 s5, s3
	s_cbranch_execz .LBB0_8
; %bb.7:
	global_load_b64 v[2:3], v[11:12], off offset:3072
.LBB0_8:
	.loc	1 0 16 is_stmt 0                ; libdevice_asin.py:0:16
	s_wait_alu depctr_sa_sdst(0)
	s_or_b32 exec_lo, exec_lo, s5
	.loc	1 20 23 is_stmt 1               ; libdevice_asin.py:20:23
	s_wait_loadcnt 0x0
	v_fma_f64 v[12:13], |v[0:1]|, -0.5, 0.5
	v_mul_f64_e32 v[10:11], v[0:1], v[0:1]
	v_cmp_ge_f64_e64 s5, |v[0:1]|, 0.5
	s_mov_b32 s6, 0x78a05eaf
	s_mov_b32 s8, 0x9fea6a70
	;; [unrolled: 1-line block ×24, first 2 shown]
	s_wait_alu depctr_va_sdst(0)
	v_cndmask_b32_e64 v11, v11, v13, s5
	v_cndmask_b32_e64 v10, v10, v12, s5
	s_wait_alu depctr_sa_sdst(0)
	s_delay_alu instid0(VALU_DEP_1) | instskip(NEXT) | instid1(VALU_DEP_1)
	v_fma_f64 v[14:15], v[10:11], s[8:9], s[6:7]
	v_fma_f64 v[14:15], v[10:11], v[14:15], s[10:11]
	s_delay_alu instid0(VALU_DEP_1) | instskip(NEXT) | instid1(VALU_DEP_1)
	v_fma_f64 v[14:15], v[10:11], v[14:15], s[12:13]
	v_fma_f64 v[14:15], v[10:11], v[14:15], s[14:15]
	;; [unrolled: 3-line block ×5, first 2 shown]
	s_delay_alu instid0(VALU_DEP_1) | instskip(NEXT) | instid1(VALU_DEP_1)
	v_fma_f64 v[14:15], v[10:11], v[14:15], s[28:29]
	v_mul_f64_e32 v[14:15], v[10:11], v[14:15]
	s_delay_alu instid0(VALU_DEP_1)
	v_fma_f64 v[10:11], |v[0:1]|, v[14:15], |v[0:1]|
	s_and_saveexec_b32 s30, s5
	s_cbranch_execz .LBB0_10
; %bb.9:
	v_rsq_f64_e32 v[10:11], v[12:13]
	v_cmp_eq_f64_e64 s5, 0, v[12:13]
	s_mov_b32 s34, 0x54442d18
	s_mov_b32 s35, 0x3fe921fb
	s_delay_alu instid0(TRANS32_DEP_1) | instskip(SKIP_1) | instid1(VALU_DEP_1)
	v_mul_f64_e32 v[16:17], v[12:13], v[10:11]
	v_mul_f64_e32 v[10:11], 0.5, v[10:11]
	v_fma_f64 v[18:19], -v[10:11], v[16:17], 0.5
	s_delay_alu instid0(VALU_DEP_1) | instskip(SKIP_1) | instid1(VALU_DEP_2)
	v_fma_f64 v[16:17], v[16:17], v[18:19], v[16:17]
	v_fma_f64 v[10:11], v[10:11], v[18:19], v[10:11]
	v_fma_f64 v[18:19], -v[16:17], v[16:17], v[12:13]
	s_delay_alu instid0(VALU_DEP_1) | instskip(SKIP_1) | instid1(VALU_DEP_1)
	v_fma_f64 v[10:11], v[18:19], v[10:11], v[16:17]
	s_wait_alu depctr_va_sdst(0)
	v_cndmask_b32_e64 v11, v11, v13, s5
	s_delay_alu instid0(VALU_DEP_2) | instskip(NEXT) | instid1(VALU_DEP_1)
	v_cndmask_b32_e64 v10, v10, v12, s5
	v_add_f64_e32 v[16:17], v[10:11], v[10:11]
	v_fma_f64 v[20:21], -v[10:11], v[10:11], v[12:13]
	v_mul_f64_e32 v[22:23], v[10:11], v[10:11]
	s_delay_alu instid0(VALU_DEP_3) | instskip(NEXT) | instid1(VALU_DEP_2)
	v_rcp_f64_e32 v[18:19], v[16:17]
	v_add_f64_e64 v[12:13], v[12:13], -v[20:21]
	s_delay_alu instid0(VALU_DEP_2) | instskip(NEXT) | instid1(VALU_DEP_2)
	v_fma_f64 v[22:23], v[10:11], v[10:11], -v[22:23]
	v_fma_f64 v[12:13], -v[10:11], v[10:11], v[12:13]
	s_delay_alu instid0(TRANS32_DEP_1) | instskip(NEXT) | instid1(VALU_DEP_2)
	v_fma_f64 v[24:25], -v[16:17], v[18:19], 1.0
	v_add_f64_e64 v[12:13], v[12:13], -v[22:23]
	s_delay_alu instid0(VALU_DEP_2) | instskip(NEXT) | instid1(VALU_DEP_2)
	v_fma_f64 v[18:19], v[24:25], v[18:19], v[18:19]
	v_add_f64_e32 v[12:13], v[20:21], v[12:13]
	s_delay_alu instid0(VALU_DEP_2) | instskip(NEXT) | instid1(VALU_DEP_1)
	v_fma_f64 v[22:23], -v[16:17], v[18:19], 1.0
	v_fma_f64 v[18:19], v[22:23], v[18:19], v[18:19]
	s_delay_alu instid0(VALU_DEP_1) | instskip(NEXT) | instid1(VALU_DEP_1)
	v_mul_f64_e32 v[20:21], v[12:13], v[18:19]
	v_fma_f64 v[12:13], -v[16:17], v[20:21], v[12:13]
	s_delay_alu instid0(VALU_DEP_1) | instskip(NEXT) | instid1(VALU_DEP_1)
	v_fma_f64 v[12:13], v[12:13], v[18:19], v[20:21]
	v_cndmask_b32_e64 v13, v13, 0, s5
	s_delay_alu instid0(VALU_DEP_2) | instskip(SKIP_1) | instid1(VALU_DEP_2)
	v_cndmask_b32_e64 v12, v12, 0, s5
	v_cmp_neq_f64_e64 s5, |v[0:1]|, 1.0
	v_add_f64_e32 v[16:17], v[10:11], v[12:13]
	s_delay_alu instid0(VALU_DEP_1) | instskip(SKIP_1) | instid1(VALU_DEP_2)
	v_add_f64_e64 v[10:11], v[16:17], -v[10:11]
	v_mul_f64_e32 v[18:19], v[14:15], v[16:17]
	v_add_f64_e64 v[10:11], v[12:13], -v[10:11]
	s_delay_alu instid0(VALU_DEP_2) | instskip(NEXT) | instid1(VALU_DEP_1)
	v_fma_f64 v[12:13], v[16:17], v[14:15], -v[18:19]
	v_fma_f64 v[12:13], v[10:11], v[14:15], v[12:13]
	s_delay_alu instid0(VALU_DEP_1) | instskip(NEXT) | instid1(VALU_DEP_1)
	v_fma_f64 v[18:19], v[14:15], v[16:17], v[12:13]
	v_add_f64_e32 v[20:21], v[16:17], v[18:19]
	v_fma_f64 v[14:15], -v[14:15], v[16:17], v[18:19]
	s_delay_alu instid0(VALU_DEP_2) | instskip(NEXT) | instid1(VALU_DEP_2)
	v_add_f64_e64 v[16:17], v[20:21], -v[16:17]
	v_add_f64_e64 v[12:13], v[12:13], -v[14:15]
	s_delay_alu instid0(VALU_DEP_2) | instskip(NEXT) | instid1(VALU_DEP_2)
	v_add_f64_e64 v[14:15], v[18:19], -v[16:17]
	v_add_f64_e32 v[10:11], v[10:11], v[12:13]
	s_delay_alu instid0(VALU_DEP_1) | instskip(NEXT) | instid1(VALU_DEP_1)
	v_add_f64_e32 v[10:11], v[10:11], v[14:15]
	v_add_f64_e32 v[12:13], v[20:21], v[10:11]
	s_delay_alu instid0(VALU_DEP_1) | instskip(SKIP_1) | instid1(VALU_DEP_2)
	v_add_f64_e64 v[14:15], -v[12:13], s[34:35]
	v_add_f64_e64 v[18:19], v[12:13], -v[20:21]
	v_add_f64_e64 v[16:17], -v[14:15], s[34:35]
	s_mov_b32 s34, 0x33145c07
	s_mov_b32 s35, 0x3c81a626
	s_delay_alu instid0(VALU_DEP_2) | instskip(NEXT) | instid1(VALU_DEP_2)
	v_add_f64_e64 v[10:11], v[18:19], -v[10:11]
	v_add_f64_e64 v[12:13], v[16:17], -v[12:13]
	s_wait_alu depctr_sa_sdst(0)
	s_delay_alu instid0(VALU_DEP_1) | instskip(NEXT) | instid1(VALU_DEP_1)
	v_add_f64_e32 v[12:13], s[34:35], v[12:13]
	v_add_f64_e32 v[10:11], v[10:11], v[12:13]
	s_delay_alu instid0(VALU_DEP_1) | instskip(NEXT) | instid1(VALU_DEP_1)
	v_add_f64_e32 v[10:11], v[14:15], v[10:11]
	v_add_f64_e32 v[10:11], v[10:11], v[10:11]
	s_wait_alu depctr_va_sdst(0)
	s_delay_alu instid0(VALU_DEP_1) | instskip(NEXT) | instid1(VALU_DEP_2)
	v_cndmask_b32_e64 v11, 0x3ff921fb, v11, s5
	v_cndmask_b32_e64 v10, 0x54442d18, v10, s5
.LBB0_10:                               ; %__ocml_asin_f64.exit
	.loc	1 0 23 is_stmt 0                ; libdevice_asin.py:0:23
	s_or_b32 exec_lo, exec_lo, s30
	.loc	1 20 23                         ; libdevice_asin.py:20:23
	v_fma_f64 v[16:17], |v[6:7]|, -0.5, 0.5
	v_mul_f64_e32 v[12:13], v[6:7], v[6:7]
	v_cmp_ge_f64_e64 s5, |v[6:7]|, 0.5
	s_wait_alu depctr_va_sdst(0)
	s_delay_alu instid0(VALU_DEP_1) | instskip(NEXT) | instid1(VALU_DEP_3)
	v_cndmask_b32_e64 v13, v13, v17, s5
	v_cndmask_b32_e64 v12, v12, v16, s5
	s_delay_alu instid0(VALU_DEP_1) | instskip(SKIP_1) | instid1(VALU_DEP_1)
	v_fma_f64 v[14:15], v[12:13], s[8:9], s[6:7]
	s_load_b64 s[6:7], s[0:1], 0x8
	v_fma_f64 v[14:15], v[12:13], v[14:15], s[10:11]
	s_delay_alu instid0(VALU_DEP_1) | instskip(NEXT) | instid1(VALU_DEP_1)
	v_fma_f64 v[14:15], v[12:13], v[14:15], s[12:13]
	v_fma_f64 v[14:15], v[12:13], v[14:15], s[14:15]
	s_delay_alu instid0(VALU_DEP_1) | instskip(NEXT) | instid1(VALU_DEP_1)
	v_fma_f64 v[14:15], v[12:13], v[14:15], s[16:17]
	;; [unrolled: 3-line block ×5, first 2 shown]
	v_mul_f64_e32 v[14:15], v[12:13], v[14:15]
	s_delay_alu instid0(VALU_DEP_1)
	v_fma_f64 v[12:13], |v[6:7]|, v[14:15], |v[6:7]|
	s_and_saveexec_b32 s1, s5
	s_cbranch_execz .LBB0_12
; %bb.11:
	v_rsq_f64_e32 v[12:13], v[16:17]
	v_cmp_eq_f64_e64 s0, 0, v[16:17]
	s_mov_b32 s8, 0x54442d18
	s_mov_b32 s9, 0x3fe921fb
	s_delay_alu instid0(TRANS32_DEP_1) | instskip(SKIP_1) | instid1(VALU_DEP_1)
	v_mul_f64_e32 v[18:19], v[16:17], v[12:13]
	v_mul_f64_e32 v[12:13], 0.5, v[12:13]
	v_fma_f64 v[20:21], -v[12:13], v[18:19], 0.5
	s_delay_alu instid0(VALU_DEP_1) | instskip(SKIP_1) | instid1(VALU_DEP_2)
	v_fma_f64 v[18:19], v[18:19], v[20:21], v[18:19]
	v_fma_f64 v[12:13], v[12:13], v[20:21], v[12:13]
	v_fma_f64 v[20:21], -v[18:19], v[18:19], v[16:17]
	s_delay_alu instid0(VALU_DEP_1) | instskip(NEXT) | instid1(VALU_DEP_1)
	v_fma_f64 v[12:13], v[20:21], v[12:13], v[18:19]
	v_cndmask_b32_e64 v13, v13, v17, s0
	s_delay_alu instid0(VALU_DEP_2) | instskip(NEXT) | instid1(VALU_DEP_1)
	v_cndmask_b32_e64 v12, v12, v16, s0
	v_add_f64_e32 v[18:19], v[12:13], v[12:13]
	v_fma_f64 v[22:23], -v[12:13], v[12:13], v[16:17]
	v_mul_f64_e32 v[24:25], v[12:13], v[12:13]
	s_delay_alu instid0(VALU_DEP_3) | instskip(NEXT) | instid1(VALU_DEP_2)
	v_rcp_f64_e32 v[20:21], v[18:19]
	v_add_f64_e64 v[16:17], v[16:17], -v[22:23]
	s_delay_alu instid0(VALU_DEP_2) | instskip(NEXT) | instid1(VALU_DEP_2)
	v_fma_f64 v[24:25], v[12:13], v[12:13], -v[24:25]
	v_fma_f64 v[16:17], -v[12:13], v[12:13], v[16:17]
	s_delay_alu instid0(TRANS32_DEP_1) | instskip(NEXT) | instid1(VALU_DEP_2)
	v_fma_f64 v[26:27], -v[18:19], v[20:21], 1.0
	v_add_f64_e64 v[16:17], v[16:17], -v[24:25]
	s_delay_alu instid0(VALU_DEP_2) | instskip(NEXT) | instid1(VALU_DEP_2)
	v_fma_f64 v[20:21], v[26:27], v[20:21], v[20:21]
	v_add_f64_e32 v[16:17], v[22:23], v[16:17]
	s_delay_alu instid0(VALU_DEP_2) | instskip(NEXT) | instid1(VALU_DEP_1)
	v_fma_f64 v[24:25], -v[18:19], v[20:21], 1.0
	v_fma_f64 v[20:21], v[24:25], v[20:21], v[20:21]
	s_delay_alu instid0(VALU_DEP_1) | instskip(NEXT) | instid1(VALU_DEP_1)
	v_mul_f64_e32 v[22:23], v[16:17], v[20:21]
	v_fma_f64 v[16:17], -v[18:19], v[22:23], v[16:17]
	s_delay_alu instid0(VALU_DEP_1) | instskip(NEXT) | instid1(VALU_DEP_1)
	v_fma_f64 v[16:17], v[16:17], v[20:21], v[22:23]
	v_cndmask_b32_e64 v17, v17, 0, s0
	s_delay_alu instid0(VALU_DEP_2) | instskip(SKIP_1) | instid1(VALU_DEP_2)
	v_cndmask_b32_e64 v16, v16, 0, s0
	v_cmp_neq_f64_e64 s0, |v[6:7]|, 1.0
	v_add_f64_e32 v[18:19], v[12:13], v[16:17]
	s_delay_alu instid0(VALU_DEP_1) | instskip(SKIP_1) | instid1(VALU_DEP_2)
	v_add_f64_e64 v[12:13], v[18:19], -v[12:13]
	v_mul_f64_e32 v[20:21], v[14:15], v[18:19]
	v_add_f64_e64 v[12:13], v[16:17], -v[12:13]
	s_delay_alu instid0(VALU_DEP_2) | instskip(NEXT) | instid1(VALU_DEP_1)
	v_fma_f64 v[16:17], v[18:19], v[14:15], -v[20:21]
	v_fma_f64 v[16:17], v[12:13], v[14:15], v[16:17]
	s_delay_alu instid0(VALU_DEP_1) | instskip(NEXT) | instid1(VALU_DEP_1)
	v_fma_f64 v[20:21], v[14:15], v[18:19], v[16:17]
	v_add_f64_e32 v[22:23], v[18:19], v[20:21]
	v_fma_f64 v[14:15], -v[14:15], v[18:19], v[20:21]
	s_delay_alu instid0(VALU_DEP_2) | instskip(NEXT) | instid1(VALU_DEP_2)
	v_add_f64_e64 v[18:19], v[22:23], -v[18:19]
	v_add_f64_e64 v[14:15], v[16:17], -v[14:15]
	s_delay_alu instid0(VALU_DEP_2) | instskip(NEXT) | instid1(VALU_DEP_2)
	v_add_f64_e64 v[16:17], v[20:21], -v[18:19]
	v_add_f64_e32 v[12:13], v[12:13], v[14:15]
	s_delay_alu instid0(VALU_DEP_1) | instskip(NEXT) | instid1(VALU_DEP_1)
	v_add_f64_e32 v[12:13], v[12:13], v[16:17]
	v_add_f64_e32 v[14:15], v[22:23], v[12:13]
	s_wait_alu depctr_sa_sdst(0)
	s_delay_alu instid0(VALU_DEP_1) | instskip(SKIP_1) | instid1(VALU_DEP_2)
	v_add_f64_e64 v[16:17], -v[14:15], s[8:9]
	v_add_f64_e64 v[20:21], v[14:15], -v[22:23]
	v_add_f64_e64 v[18:19], -v[16:17], s[8:9]
	s_mov_b32 s8, 0x33145c07
	s_mov_b32 s9, 0x3c81a626
	s_delay_alu instid0(VALU_DEP_2) | instskip(NEXT) | instid1(VALU_DEP_2)
	v_add_f64_e64 v[12:13], v[20:21], -v[12:13]
	v_add_f64_e64 v[14:15], v[18:19], -v[14:15]
	s_wait_alu depctr_sa_sdst(0)
	s_delay_alu instid0(VALU_DEP_1) | instskip(NEXT) | instid1(VALU_DEP_1)
	v_add_f64_e32 v[14:15], s[8:9], v[14:15]
	v_add_f64_e32 v[12:13], v[12:13], v[14:15]
	s_delay_alu instid0(VALU_DEP_1) | instskip(NEXT) | instid1(VALU_DEP_1)
	v_add_f64_e32 v[12:13], v[16:17], v[12:13]
	v_add_f64_e32 v[12:13], v[12:13], v[12:13]
	s_wait_alu depctr_va_sdst(0)
	s_delay_alu instid0(VALU_DEP_1) | instskip(NEXT) | instid1(VALU_DEP_2)
	v_cndmask_b32_e64 v13, 0x3ff921fb, v13, s0
	v_cndmask_b32_e64 v12, 0x54442d18, v12, s0
.LBB0_12:                               ; %__ocml_asin_f64.exit1
	.loc	1 0 23                          ; libdevice_asin.py:0:23
	s_or_b32 exec_lo, exec_lo, s1
	.loc	1 20 23                         ; libdevice_asin.py:20:23
	v_fma_f64 v[16:17], |v[2:3]|, -0.5, 0.5
	v_mul_f64_e32 v[14:15], v[2:3], v[2:3]
	v_cmp_ge_f64_e64 s0, |v[2:3]|, 0.5
	s_mov_b32 s8, 0x78a05eaf
	s_mov_b32 s10, 0x9fea6a70
	;; [unrolled: 1-line block ×4, first 2 shown]
	s_wait_alu depctr_va_sdst(0)
	v_cndmask_b32_e64 v15, v15, v17, s0
	v_cndmask_b32_e64 v14, v14, v16, s0
	s_wait_alu depctr_sa_sdst(0)
	s_delay_alu instid0(VALU_DEP_1) | instskip(SKIP_3) | instid1(VALU_DEP_1)
	v_fma_f64 v[18:19], v[14:15], s[10:11], s[8:9]
	s_mov_b32 s8, 0x37024d6a
	s_mov_b32 s9, 0x3f940521
	s_wait_alu depctr_sa_sdst(0)
	v_fma_f64 v[18:19], v[14:15], v[18:19], s[8:9]
	s_mov_b32 s8, 0x98a70509
	s_mov_b32 s9, 0x3f7ab3a0
	s_wait_alu depctr_sa_sdst(0)
	s_delay_alu instid0(VALU_DEP_1) | instskip(SKIP_3) | instid1(VALU_DEP_1)
	v_fma_f64 v[18:19], v[14:15], v[18:19], s[8:9]
	s_mov_b32 s8, 0xa300c8d2
	s_mov_b32 s9, 0x3f88ed60
	s_wait_alu depctr_sa_sdst(0)
	v_fma_f64 v[18:19], v[14:15], v[18:19], s[8:9]
	s_mov_b32 s8, 0x4b77012b
	s_mov_b32 s9, 0x3f8c6fa8
	;; [unrolled: 9-line block ×5, first 2 shown]
	s_wait_alu depctr_sa_sdst(0)
	s_delay_alu instid0(VALU_DEP_1) | instskip(NEXT) | instid1(VALU_DEP_1)
	v_fma_f64 v[18:19], v[14:15], v[18:19], s[8:9]
	v_mul_f64_e32 v[18:19], v[14:15], v[18:19]
	s_delay_alu instid0(VALU_DEP_1)
	v_fma_f64 v[14:15], |v[2:3]|, v[18:19], |v[2:3]|
	s_and_saveexec_b32 s1, s0
	s_cbranch_execz .LBB0_14
; %bb.13:
	v_rsq_f64_e32 v[14:15], v[16:17]
	v_cmp_eq_f64_e64 s0, 0, v[16:17]
	s_mov_b32 s8, 0x54442d18
	s_mov_b32 s9, 0x3fe921fb
	s_delay_alu instid0(TRANS32_DEP_1) | instskip(SKIP_1) | instid1(VALU_DEP_1)
	v_mul_f64_e32 v[20:21], v[16:17], v[14:15]
	v_mul_f64_e32 v[14:15], 0.5, v[14:15]
	v_fma_f64 v[22:23], -v[14:15], v[20:21], 0.5
	s_delay_alu instid0(VALU_DEP_1) | instskip(SKIP_1) | instid1(VALU_DEP_2)
	v_fma_f64 v[20:21], v[20:21], v[22:23], v[20:21]
	v_fma_f64 v[14:15], v[14:15], v[22:23], v[14:15]
	v_fma_f64 v[22:23], -v[20:21], v[20:21], v[16:17]
	s_delay_alu instid0(VALU_DEP_1) | instskip(SKIP_1) | instid1(VALU_DEP_1)
	v_fma_f64 v[14:15], v[22:23], v[14:15], v[20:21]
	s_wait_alu depctr_va_sdst(0)
	v_cndmask_b32_e64 v15, v15, v17, s0
	s_delay_alu instid0(VALU_DEP_2) | instskip(NEXT) | instid1(VALU_DEP_1)
	v_cndmask_b32_e64 v14, v14, v16, s0
	v_add_f64_e32 v[20:21], v[14:15], v[14:15]
	v_fma_f64 v[24:25], -v[14:15], v[14:15], v[16:17]
	v_mul_f64_e32 v[26:27], v[14:15], v[14:15]
	s_delay_alu instid0(VALU_DEP_3) | instskip(NEXT) | instid1(VALU_DEP_2)
	v_rcp_f64_e32 v[22:23], v[20:21]
	v_add_f64_e64 v[16:17], v[16:17], -v[24:25]
	s_delay_alu instid0(VALU_DEP_2) | instskip(NEXT) | instid1(VALU_DEP_2)
	v_fma_f64 v[26:27], v[14:15], v[14:15], -v[26:27]
	v_fma_f64 v[16:17], -v[14:15], v[14:15], v[16:17]
	s_delay_alu instid0(TRANS32_DEP_1) | instskip(NEXT) | instid1(VALU_DEP_2)
	v_fma_f64 v[28:29], -v[20:21], v[22:23], 1.0
	v_add_f64_e64 v[16:17], v[16:17], -v[26:27]
	s_delay_alu instid0(VALU_DEP_2) | instskip(NEXT) | instid1(VALU_DEP_2)
	v_fma_f64 v[22:23], v[28:29], v[22:23], v[22:23]
	v_add_f64_e32 v[16:17], v[24:25], v[16:17]
	s_delay_alu instid0(VALU_DEP_2) | instskip(NEXT) | instid1(VALU_DEP_1)
	v_fma_f64 v[26:27], -v[20:21], v[22:23], 1.0
	v_fma_f64 v[22:23], v[26:27], v[22:23], v[22:23]
	s_delay_alu instid0(VALU_DEP_1) | instskip(NEXT) | instid1(VALU_DEP_1)
	v_mul_f64_e32 v[24:25], v[16:17], v[22:23]
	v_fma_f64 v[16:17], -v[20:21], v[24:25], v[16:17]
	s_delay_alu instid0(VALU_DEP_1) | instskip(NEXT) | instid1(VALU_DEP_1)
	v_fma_f64 v[16:17], v[16:17], v[22:23], v[24:25]
	v_cndmask_b32_e64 v17, v17, 0, s0
	s_delay_alu instid0(VALU_DEP_2) | instskip(SKIP_1) | instid1(VALU_DEP_2)
	v_cndmask_b32_e64 v16, v16, 0, s0
	v_cmp_neq_f64_e64 s0, |v[2:3]|, 1.0
	v_add_f64_e32 v[20:21], v[14:15], v[16:17]
	s_delay_alu instid0(VALU_DEP_1) | instskip(SKIP_1) | instid1(VALU_DEP_2)
	v_add_f64_e64 v[14:15], v[20:21], -v[14:15]
	v_mul_f64_e32 v[22:23], v[18:19], v[20:21]
	v_add_f64_e64 v[14:15], v[16:17], -v[14:15]
	s_delay_alu instid0(VALU_DEP_2) | instskip(NEXT) | instid1(VALU_DEP_1)
	v_fma_f64 v[16:17], v[20:21], v[18:19], -v[22:23]
	v_fma_f64 v[16:17], v[14:15], v[18:19], v[16:17]
	s_delay_alu instid0(VALU_DEP_1) | instskip(NEXT) | instid1(VALU_DEP_1)
	v_fma_f64 v[22:23], v[18:19], v[20:21], v[16:17]
	v_add_f64_e32 v[24:25], v[20:21], v[22:23]
	v_fma_f64 v[18:19], -v[18:19], v[20:21], v[22:23]
	s_delay_alu instid0(VALU_DEP_2) | instskip(NEXT) | instid1(VALU_DEP_2)
	v_add_f64_e64 v[20:21], v[24:25], -v[20:21]
	v_add_f64_e64 v[16:17], v[16:17], -v[18:19]
	s_delay_alu instid0(VALU_DEP_2) | instskip(NEXT) | instid1(VALU_DEP_2)
	v_add_f64_e64 v[18:19], v[22:23], -v[20:21]
	v_add_f64_e32 v[14:15], v[14:15], v[16:17]
	s_delay_alu instid0(VALU_DEP_1) | instskip(NEXT) | instid1(VALU_DEP_1)
	v_add_f64_e32 v[14:15], v[14:15], v[18:19]
	v_add_f64_e32 v[16:17], v[24:25], v[14:15]
	s_wait_alu depctr_sa_sdst(0)
	s_delay_alu instid0(VALU_DEP_1) | instskip(SKIP_1) | instid1(VALU_DEP_2)
	v_add_f64_e64 v[18:19], -v[16:17], s[8:9]
	v_add_f64_e64 v[22:23], v[16:17], -v[24:25]
	v_add_f64_e64 v[20:21], -v[18:19], s[8:9]
	s_mov_b32 s8, 0x33145c07
	s_mov_b32 s9, 0x3c81a626
	s_delay_alu instid0(VALU_DEP_2) | instskip(NEXT) | instid1(VALU_DEP_2)
	v_add_f64_e64 v[14:15], v[22:23], -v[14:15]
	v_add_f64_e64 v[16:17], v[20:21], -v[16:17]
	s_wait_alu depctr_sa_sdst(0)
	s_delay_alu instid0(VALU_DEP_1) | instskip(NEXT) | instid1(VALU_DEP_1)
	v_add_f64_e32 v[16:17], s[8:9], v[16:17]
	v_add_f64_e32 v[14:15], v[14:15], v[16:17]
	s_delay_alu instid0(VALU_DEP_1) | instskip(NEXT) | instid1(VALU_DEP_1)
	v_add_f64_e32 v[14:15], v[18:19], v[14:15]
	v_add_f64_e32 v[14:15], v[14:15], v[14:15]
	s_wait_alu depctr_va_sdst(0)
	s_delay_alu instid0(VALU_DEP_1) | instskip(NEXT) | instid1(VALU_DEP_2)
	v_cndmask_b32_e64 v15, 0x3ff921fb, v15, s0
	v_cndmask_b32_e64 v14, 0x54442d18, v14, s0
.LBB0_14:                               ; %__ocml_asin_f64.exit2
	.loc	1 0 23                          ; libdevice_asin.py:0:23
	s_wait_alu depctr_sa_sdst(0)
	s_or_b32 exec_lo, exec_lo, s1
	.loc	1 21 21 is_stmt 1               ; libdevice_asin.py:21:21
	s_wait_kmcnt 0x0
	v_add_co_u32 v8, s0, s6, v8
	s_wait_alu depctr_va_sdst(0)
	v_add_co_ci_u32_e64 v9, null, s7, v9, s0
	.loc	1 21 30 is_stmt 0               ; libdevice_asin.py:21:30
	s_and_saveexec_b32 s1, s4
	s_cbranch_execnz .LBB0_19
; %bb.15:                               ; %Flow
	.loc	1 0 30                          ; libdevice_asin.py:0:30
	s_wait_alu depctr_sa_sdst(0)
	s_or_b32 exec_lo, exec_lo, s1
	.loc	1 21 30                         ; libdevice_asin.py:21:30
	s_and_saveexec_b32 s0, vcc_lo
	s_cbranch_execnz .LBB0_22
.LBB0_16:
	.loc	1 0 30                          ; libdevice_asin.py:0:30
	s_wait_alu depctr_sa_sdst(0)
	s_or_b32 exec_lo, exec_lo, s0
	.loc	1 21 30                         ; libdevice_asin.py:21:30
	s_and_saveexec_b32 s0, s2
	s_cbranch_execnz .LBB0_23
.LBB0_17:
	.loc	1 0 30                          ; libdevice_asin.py:0:30
	s_wait_alu depctr_sa_sdst(0)
	s_or_b32 exec_lo, exec_lo, s0
	.loc	1 21 30                         ; libdevice_asin.py:21:30
	s_and_saveexec_b32 s0, s3
	s_cbranch_execnz .LBB0_24
.LBB0_18:
	.loc	1 21 4                          ; libdevice_asin.py:21:4
	s_endpgm
.LBB0_19:
	.loc	1 20 23 is_stmt 1               ; libdevice_asin.py:20:23
	v_fma_f64 v[16:17], |v[4:5]|, -0.5, 0.5
	v_mul_f64_e32 v[18:19], v[4:5], v[4:5]
	v_cmp_ge_f64_e64 s0, |v[4:5]|, 0.5
	s_mov_b32 s4, 0x78a05eaf
	s_mov_b32 s6, 0x9fea6a70
	;; [unrolled: 1-line block ×4, first 2 shown]
	s_wait_alu depctr_va_sdst(0)
	v_cndmask_b32_e64 v19, v19, v17, s0
	v_cndmask_b32_e64 v18, v18, v16, s0
	s_wait_alu depctr_sa_sdst(0)
	s_delay_alu instid0(VALU_DEP_1) | instskip(SKIP_3) | instid1(VALU_DEP_1)
	v_fma_f64 v[20:21], v[18:19], s[6:7], s[4:5]
	s_mov_b32 s4, 0x37024d6a
	s_mov_b32 s5, 0x3f940521
	s_wait_alu depctr_sa_sdst(0)
	v_fma_f64 v[20:21], v[18:19], v[20:21], s[4:5]
	s_mov_b32 s4, 0x98a70509
	s_mov_b32 s5, 0x3f7ab3a0
	s_wait_alu depctr_sa_sdst(0)
	s_delay_alu instid0(VALU_DEP_1) | instskip(SKIP_3) | instid1(VALU_DEP_1)
	v_fma_f64 v[20:21], v[18:19], v[20:21], s[4:5]
	s_mov_b32 s4, 0xa300c8d2
	s_mov_b32 s5, 0x3f88ed60
	s_wait_alu depctr_sa_sdst(0)
	v_fma_f64 v[20:21], v[18:19], v[20:21], s[4:5]
	s_mov_b32 s4, 0x4b77012b
	s_mov_b32 s5, 0x3f8c6fa8
	;; [unrolled: 9-line block ×5, first 2 shown]
	s_wait_alu depctr_sa_sdst(0)
	s_delay_alu instid0(VALU_DEP_1) | instskip(NEXT) | instid1(VALU_DEP_1)
	v_fma_f64 v[20:21], v[18:19], v[20:21], s[4:5]
	v_mul_f64_e32 v[18:19], v[18:19], v[20:21]
	s_delay_alu instid0(VALU_DEP_1)
	v_fma_f64 v[20:21], |v[4:5]|, v[18:19], |v[4:5]|
	s_and_saveexec_b32 s4, s0
	s_cbranch_execz .LBB0_21
; %bb.20:
	v_rsq_f64_e32 v[20:21], v[16:17]
	v_cmp_eq_f64_e64 s0, 0, v[16:17]
	s_mov_b32 s6, 0x54442d18
	s_mov_b32 s7, 0x3fe921fb
	s_delay_alu instid0(TRANS32_DEP_1) | instskip(SKIP_1) | instid1(VALU_DEP_1)
	v_mul_f64_e32 v[22:23], v[16:17], v[20:21]
	v_mul_f64_e32 v[20:21], 0.5, v[20:21]
	v_fma_f64 v[24:25], -v[20:21], v[22:23], 0.5
	s_delay_alu instid0(VALU_DEP_1) | instskip(SKIP_1) | instid1(VALU_DEP_2)
	v_fma_f64 v[22:23], v[22:23], v[24:25], v[22:23]
	v_fma_f64 v[20:21], v[20:21], v[24:25], v[20:21]
	v_fma_f64 v[24:25], -v[22:23], v[22:23], v[16:17]
	s_delay_alu instid0(VALU_DEP_1) | instskip(SKIP_1) | instid1(VALU_DEP_1)
	v_fma_f64 v[20:21], v[24:25], v[20:21], v[22:23]
	s_wait_alu depctr_va_sdst(0)
	v_cndmask_b32_e64 v21, v21, v17, s0
	s_delay_alu instid0(VALU_DEP_2) | instskip(NEXT) | instid1(VALU_DEP_1)
	v_cndmask_b32_e64 v20, v20, v16, s0
	v_add_f64_e32 v[22:23], v[20:21], v[20:21]
	v_fma_f64 v[26:27], -v[20:21], v[20:21], v[16:17]
	v_mul_f64_e32 v[28:29], v[20:21], v[20:21]
	s_delay_alu instid0(VALU_DEP_3) | instskip(NEXT) | instid1(VALU_DEP_2)
	v_rcp_f64_e32 v[24:25], v[22:23]
	v_add_f64_e64 v[16:17], v[16:17], -v[26:27]
	s_delay_alu instid0(VALU_DEP_2) | instskip(NEXT) | instid1(VALU_DEP_2)
	v_fma_f64 v[28:29], v[20:21], v[20:21], -v[28:29]
	v_fma_f64 v[16:17], -v[20:21], v[20:21], v[16:17]
	s_delay_alu instid0(TRANS32_DEP_1) | instskip(NEXT) | instid1(VALU_DEP_2)
	v_fma_f64 v[30:31], -v[22:23], v[24:25], 1.0
	v_add_f64_e64 v[16:17], v[16:17], -v[28:29]
	s_delay_alu instid0(VALU_DEP_2) | instskip(NEXT) | instid1(VALU_DEP_2)
	v_fma_f64 v[24:25], v[30:31], v[24:25], v[24:25]
	v_add_f64_e32 v[16:17], v[26:27], v[16:17]
	s_delay_alu instid0(VALU_DEP_2) | instskip(NEXT) | instid1(VALU_DEP_1)
	v_fma_f64 v[28:29], -v[22:23], v[24:25], 1.0
	v_fma_f64 v[24:25], v[28:29], v[24:25], v[24:25]
	s_delay_alu instid0(VALU_DEP_1) | instskip(NEXT) | instid1(VALU_DEP_1)
	v_mul_f64_e32 v[26:27], v[16:17], v[24:25]
	v_fma_f64 v[16:17], -v[22:23], v[26:27], v[16:17]
	s_delay_alu instid0(VALU_DEP_1) | instskip(NEXT) | instid1(VALU_DEP_1)
	v_fma_f64 v[16:17], v[16:17], v[24:25], v[26:27]
	v_cndmask_b32_e64 v17, v17, 0, s0
	s_delay_alu instid0(VALU_DEP_2) | instskip(SKIP_1) | instid1(VALU_DEP_2)
	v_cndmask_b32_e64 v16, v16, 0, s0
	v_cmp_neq_f64_e64 s0, |v[4:5]|, 1.0
	v_add_f64_e32 v[22:23], v[20:21], v[16:17]
	s_delay_alu instid0(VALU_DEP_1) | instskip(SKIP_1) | instid1(VALU_DEP_2)
	v_add_f64_e64 v[20:21], v[22:23], -v[20:21]
	v_mul_f64_e32 v[24:25], v[18:19], v[22:23]
	v_add_f64_e64 v[16:17], v[16:17], -v[20:21]
	s_delay_alu instid0(VALU_DEP_2) | instskip(NEXT) | instid1(VALU_DEP_1)
	v_fma_f64 v[20:21], v[22:23], v[18:19], -v[24:25]
	v_fma_f64 v[20:21], v[16:17], v[18:19], v[20:21]
	s_delay_alu instid0(VALU_DEP_1) | instskip(NEXT) | instid1(VALU_DEP_1)
	v_fma_f64 v[24:25], v[18:19], v[22:23], v[20:21]
	v_add_f64_e32 v[26:27], v[22:23], v[24:25]
	v_fma_f64 v[18:19], -v[18:19], v[22:23], v[24:25]
	s_delay_alu instid0(VALU_DEP_2) | instskip(NEXT) | instid1(VALU_DEP_2)
	v_add_f64_e64 v[22:23], v[26:27], -v[22:23]
	v_add_f64_e64 v[18:19], v[20:21], -v[18:19]
	s_delay_alu instid0(VALU_DEP_2) | instskip(NEXT) | instid1(VALU_DEP_2)
	v_add_f64_e64 v[20:21], v[24:25], -v[22:23]
	v_add_f64_e32 v[16:17], v[16:17], v[18:19]
	s_delay_alu instid0(VALU_DEP_1) | instskip(NEXT) | instid1(VALU_DEP_1)
	v_add_f64_e32 v[16:17], v[16:17], v[20:21]
	v_add_f64_e32 v[18:19], v[26:27], v[16:17]
	s_wait_alu depctr_sa_sdst(0)
	s_delay_alu instid0(VALU_DEP_1) | instskip(SKIP_1) | instid1(VALU_DEP_2)
	v_add_f64_e64 v[20:21], -v[18:19], s[6:7]
	v_add_f64_e64 v[24:25], v[18:19], -v[26:27]
	v_add_f64_e64 v[22:23], -v[20:21], s[6:7]
	s_mov_b32 s6, 0x33145c07
	s_mov_b32 s7, 0x3c81a626
	s_delay_alu instid0(VALU_DEP_2) | instskip(NEXT) | instid1(VALU_DEP_2)
	v_add_f64_e64 v[16:17], v[24:25], -v[16:17]
	v_add_f64_e64 v[18:19], v[22:23], -v[18:19]
	s_wait_alu depctr_sa_sdst(0)
	s_delay_alu instid0(VALU_DEP_1) | instskip(NEXT) | instid1(VALU_DEP_1)
	v_add_f64_e32 v[18:19], s[6:7], v[18:19]
	v_add_f64_e32 v[16:17], v[16:17], v[18:19]
	s_delay_alu instid0(VALU_DEP_1) | instskip(NEXT) | instid1(VALU_DEP_1)
	v_add_f64_e32 v[16:17], v[20:21], v[16:17]
	v_add_f64_e32 v[16:17], v[16:17], v[16:17]
	s_wait_alu depctr_va_sdst(0)
	s_delay_alu instid0(VALU_DEP_1) | instskip(NEXT) | instid1(VALU_DEP_2)
	v_cndmask_b32_e64 v21, 0x3ff921fb, v17, s0
	v_cndmask_b32_e64 v20, 0x54442d18, v16, s0
.LBB0_21:                               ; %__ocml_asin_f64.exit3
	.loc	1 0 23 is_stmt 0                ; libdevice_asin.py:0:23
	s_wait_alu depctr_sa_sdst(0)
	s_or_b32 exec_lo, exec_lo, s4
	s_delay_alu instid0(VALU_DEP_1)
	.loc	1 20 23                         ; libdevice_asin.py:20:23
	v_bfi_b32 v21, 0x7fffffff, v21, v5
	.loc	1 21 30 is_stmt 1               ; libdevice_asin.py:21:30
	global_store_b64 v[8:9], v[20:21], off
	s_or_b32 exec_lo, exec_lo, s1
	s_and_saveexec_b32 s0, vcc_lo
	s_cbranch_execz .LBB0_16
.LBB0_22:
	.loc	1 20 23                         ; libdevice_asin.py:20:23
	v_bfi_b32 v11, 0x7fffffff, v11, v1
	.loc	1 21 30                         ; libdevice_asin.py:21:30
	global_store_b64 v[8:9], v[10:11], off offset:1024
	s_wait_alu depctr_sa_sdst(0)
	s_or_b32 exec_lo, exec_lo, s0
	s_and_saveexec_b32 s0, s2
	s_cbranch_execz .LBB0_17
.LBB0_23:
	.loc	1 20 23                         ; libdevice_asin.py:20:23
	v_bfi_b32 v13, 0x7fffffff, v13, v7
	.loc	1 21 30                         ; libdevice_asin.py:21:30
	global_store_b64 v[8:9], v[12:13], off offset:2048
	s_wait_alu depctr_sa_sdst(0)
	s_or_b32 exec_lo, exec_lo, s0
	s_and_saveexec_b32 s0, s3
	s_cbranch_execz .LBB0_18
.LBB0_24:
	.loc	1 20 23                         ; libdevice_asin.py:20:23
	v_bfi_b32 v15, 0x7fffffff, v15, v3
	.loc	1 21 30                         ; libdevice_asin.py:21:30
	global_store_b64 v[8:9], v[14:15], off offset:3072
	.loc	1 21 4 is_stmt 0                ; libdevice_asin.py:21:4
	s_endpgm
.Ltmp0:
	.section	.rodata,"a",@progbits
	.p2align	6, 0x0
	.amdhsa_kernel asin_kernel
		.amdhsa_group_segment_fixed_size 0
		.amdhsa_private_segment_fixed_size 0
		.amdhsa_kernarg_size 40
		.amdhsa_user_sgpr_count 2
		.amdhsa_user_sgpr_dispatch_ptr 0
		.amdhsa_user_sgpr_queue_ptr 0
		.amdhsa_user_sgpr_kernarg_segment_ptr 1
		.amdhsa_user_sgpr_dispatch_id 0
		.amdhsa_user_sgpr_private_segment_size 0
		.amdhsa_wavefront_size32 1
		.amdhsa_uses_dynamic_stack 0
		.amdhsa_enable_private_segment 0
		.amdhsa_system_sgpr_workgroup_id_x 1
		.amdhsa_system_sgpr_workgroup_id_y 1
		.amdhsa_system_sgpr_workgroup_id_z 1
		.amdhsa_system_sgpr_workgroup_info 0
		.amdhsa_system_vgpr_workitem_id 0
		.amdhsa_next_free_vgpr 32
		.amdhsa_next_free_sgpr 36
		.amdhsa_reserve_vcc 1
		.amdhsa_float_round_mode_32 0
		.amdhsa_float_round_mode_16_64 0
		.amdhsa_float_denorm_mode_32 3
		.amdhsa_float_denorm_mode_16_64 3
		.amdhsa_fp16_overflow 0
		.amdhsa_workgroup_processor_mode 1
		.amdhsa_memory_ordered 1
		.amdhsa_forward_progress 1
		.amdhsa_inst_pref_size 32
		.amdhsa_round_robin_scheduling 0
		.amdhsa_exception_fp_ieee_invalid_op 0
		.amdhsa_exception_fp_denorm_src 0
		.amdhsa_exception_fp_ieee_div_zero 0
		.amdhsa_exception_fp_ieee_overflow 0
		.amdhsa_exception_fp_ieee_underflow 0
		.amdhsa_exception_fp_ieee_inexact 0
		.amdhsa_exception_int_div_zero 0
	.end_amdhsa_kernel
	.text
.Lfunc_end0:
	.size	asin_kernel, .Lfunc_end0-asin_kernel
	.cfi_endproc
                                        ; -- End function
	.set asin_kernel.num_vgpr, 32
	.set asin_kernel.num_agpr, 0
	.set asin_kernel.numbered_sgpr, 36
	.set asin_kernel.num_named_barrier, 0
	.set asin_kernel.private_seg_size, 0
	.set asin_kernel.uses_vcc, 1
	.set asin_kernel.uses_flat_scratch, 0
	.set asin_kernel.has_dyn_sized_stack, 0
	.set asin_kernel.has_recursion, 0
	.set asin_kernel.has_indirect_call, 0
	.section	.AMDGPU.csdata,"",@progbits
; Kernel info:
; codeLenInByte = 4032
; TotalNumSgprs: 38
; NumVgprs: 32
; ScratchSize: 0
; MemoryBound: 0
; FloatMode: 240
; IeeeMode: 1
; LDSByteSize: 0 bytes/workgroup (compile time only)
; SGPRBlocks: 0
; VGPRBlocks: 3
; NumSGPRsForWavesPerEU: 38
; NumVGPRsForWavesPerEU: 32
; Occupancy: 16
; WaveLimiterHint : 0
; COMPUTE_PGM_RSRC2:SCRATCH_EN: 0
; COMPUTE_PGM_RSRC2:USER_SGPR: 2
; COMPUTE_PGM_RSRC2:TRAP_HANDLER: 0
; COMPUTE_PGM_RSRC2:TGID_X_EN: 1
; COMPUTE_PGM_RSRC2:TGID_Y_EN: 1
; COMPUTE_PGM_RSRC2:TGID_Z_EN: 1
; COMPUTE_PGM_RSRC2:TIDIG_COMP_CNT: 0
	.text
	.p2alignl 7, 3214868480
	.fill 96, 4, 3214868480
	.section	.AMDGPU.gpr_maximums,"",@progbits
	.set amdgpu.max_num_vgpr, 0
	.set amdgpu.max_num_agpr, 0
	.set amdgpu.max_num_sgpr, 0
	.set amdgpu.max_num_named_barrier, 0
	.text
	.section	.debug_abbrev,"",@progbits
	.byte	1                               ; Abbreviation Code
	.byte	17                              ; DW_TAG_compile_unit
	.byte	0                               ; DW_CHILDREN_no
	.byte	37                              ; DW_AT_producer
	.byte	14                              ; DW_FORM_strp
	.byte	19                              ; DW_AT_language
	.byte	5                               ; DW_FORM_data2
	.byte	3                               ; DW_AT_name
	.byte	14                              ; DW_FORM_strp
	.byte	16                              ; DW_AT_stmt_list
	.byte	23                              ; DW_FORM_sec_offset
	.byte	27                              ; DW_AT_comp_dir
	.byte	14                              ; DW_FORM_strp
	.byte	17                              ; DW_AT_low_pc
	.byte	1                               ; DW_FORM_addr
	.byte	18                              ; DW_AT_high_pc
	.byte	6                               ; DW_FORM_data4
	.byte	0                               ; EOM(1)
	.byte	0                               ; EOM(2)
	;; [unrolled: 1-line block ×3, first 2 shown]
	.section	.debug_info,"",@progbits
.Lcu_begin0:
	.long	.Ldebug_info_end0-.Ldebug_info_start0 ; Length of Unit
.Ldebug_info_start0:
	.short	4                               ; DWARF version number
	.long	.debug_abbrev                   ; Offset Into Abbrev. Section
	.byte	8                               ; Address Size (in bytes)
	.byte	1                               ; Abbrev [1] 0xb:0x1f DW_TAG_compile_unit
	.long	.Linfo_string0                  ; DW_AT_producer
	.short	2                               ; DW_AT_language
	.long	.Linfo_string1                  ; DW_AT_name
	.long	.Lline_table_start0             ; DW_AT_stmt_list
	.long	.Linfo_string2                  ; DW_AT_comp_dir
	.quad	.Lfunc_begin0                   ; DW_AT_low_pc
	.long	.Lfunc_end0-.Lfunc_begin0       ; DW_AT_high_pc
.Ldebug_info_end0:
	.section	.debug_str,"MS",@progbits,1
.Linfo_string0:
	.asciz	"triton"                        ; string offset=0
.Linfo_string1:
	.asciz	"libdevice_asin.py"             ; string offset=7
.Linfo_string2:
	.asciz	"/root/src/amdgpu-assembly/repos/triton-lang__triton-aot" ; string offset=25
	.section	".note.GNU-stack","",@progbits
	.amdgpu_metadata
---
amdhsa.kernels:
  - .args:
      - .address_space:  global
        .offset:         0
        .size:           8
        .value_kind:     global_buffer
      - .address_space:  global
        .offset:         8
        .size:           8
        .value_kind:     global_buffer
      - .offset:         16
        .size:           4
        .value_kind:     by_value
      - .address_space:  global
        .offset:         24
        .size:           8
        .value_kind:     global_buffer
      - .address_space:  global
        .offset:         32
        .size:           8
        .value_kind:     global_buffer
    .group_segment_fixed_size: 0
    .kernarg_segment_align: 8
    .kernarg_segment_size: 40
    .max_flat_workgroup_size: 128
    .name:           asin_kernel
    .private_segment_fixed_size: 0
    .sgpr_count:     38
    .sgpr_spill_count: 0
    .symbol:         asin_kernel.kd
    .uniform_work_group_size: 1
    .uses_dynamic_stack: false
    .vgpr_count:     32
    .vgpr_spill_count: 0
    .wavefront_size: 32
    .workgroup_processor_mode: 1
amdhsa.target:   amdgcn-amd-amdhsa--gfx1201
amdhsa.version:
  - 1
  - 2
...

	.end_amdgpu_metadata
	.section	.debug_line,"",@progbits
.Lline_table_start0:
